;; amdgpu-corpus repo=ROCm/rocFFT kind=compiled arch=gfx906 opt=O3
	.text
	.amdgcn_target "amdgcn-amd-amdhsa--gfx906"
	.amdhsa_code_object_version 6
	.protected	fft_rtc_fwd_len1200_factors_5_5_16_3_wgs_225_tpt_75_halfLds_half_ip_CI_unitstride_sbrr_dirReg ; -- Begin function fft_rtc_fwd_len1200_factors_5_5_16_3_wgs_225_tpt_75_halfLds_half_ip_CI_unitstride_sbrr_dirReg
	.globl	fft_rtc_fwd_len1200_factors_5_5_16_3_wgs_225_tpt_75_halfLds_half_ip_CI_unitstride_sbrr_dirReg
	.p2align	8
	.type	fft_rtc_fwd_len1200_factors_5_5_16_3_wgs_225_tpt_75_halfLds_half_ip_CI_unitstride_sbrr_dirReg,@function
fft_rtc_fwd_len1200_factors_5_5_16_3_wgs_225_tpt_75_halfLds_half_ip_CI_unitstride_sbrr_dirReg: ; @fft_rtc_fwd_len1200_factors_5_5_16_3_wgs_225_tpt_75_halfLds_half_ip_CI_unitstride_sbrr_dirReg
; %bb.0:
	s_load_dwordx2 s[12:13], s[4:5], 0x50
	s_load_dwordx4 s[8:11], s[4:5], 0x0
	s_load_dwordx2 s[2:3], s[4:5], 0x18
	v_mul_u32_u24_e32 v1, 0x36a, v0
	v_lshrrev_b32_e32 v1, 16, v1
	v_mad_u64_u32 v[1:2], s[0:1], s6, 3, v[1:2]
	v_mov_b32_e32 v5, 0
	s_waitcnt lgkmcnt(0)
	v_cmp_lt_u64_e64 s[0:1], s[10:11], 2
	v_mov_b32_e32 v2, v5
	v_mov_b32_e32 v3, 0
	;; [unrolled: 1-line block ×3, first 2 shown]
	s_and_b64 vcc, exec, s[0:1]
	v_mov_b32_e32 v4, 0
	v_mov_b32_e32 v9, v1
	s_cbranch_vccnz .LBB0_8
; %bb.1:
	s_load_dwordx2 s[0:1], s[4:5], 0x10
	s_add_u32 s6, s2, 8
	s_addc_u32 s7, s3, 0
	v_mov_b32_e32 v3, 0
	v_mov_b32_e32 v8, v2
	s_waitcnt lgkmcnt(0)
	s_add_u32 s16, s0, 8
	s_mov_b64 s[14:15], 1
	v_mov_b32_e32 v4, 0
	s_addc_u32 s17, s1, 0
	v_mov_b32_e32 v7, v1
.LBB0_2:                                ; =>This Inner Loop Header: Depth=1
	s_load_dwordx2 s[18:19], s[16:17], 0x0
                                        ; implicit-def: $vgpr9_vgpr10
	s_waitcnt lgkmcnt(0)
	v_or_b32_e32 v6, s19, v8
	v_cmp_ne_u64_e32 vcc, 0, v[5:6]
	s_and_saveexec_b64 s[0:1], vcc
	s_xor_b64 s[20:21], exec, s[0:1]
	s_cbranch_execz .LBB0_4
; %bb.3:                                ;   in Loop: Header=BB0_2 Depth=1
	v_cvt_f32_u32_e32 v2, s18
	v_cvt_f32_u32_e32 v6, s19
	s_sub_u32 s0, 0, s18
	s_subb_u32 s1, 0, s19
	v_mac_f32_e32 v2, 0x4f800000, v6
	v_rcp_f32_e32 v2, v2
	v_mul_f32_e32 v2, 0x5f7ffffc, v2
	v_mul_f32_e32 v6, 0x2f800000, v2
	v_trunc_f32_e32 v6, v6
	v_mac_f32_e32 v2, 0xcf800000, v6
	v_cvt_u32_f32_e32 v6, v6
	v_cvt_u32_f32_e32 v2, v2
	v_mul_lo_u32 v9, s0, v6
	v_mul_hi_u32 v10, s0, v2
	v_mul_lo_u32 v12, s1, v2
	v_mul_lo_u32 v11, s0, v2
	v_add_u32_e32 v9, v10, v9
	v_add_u32_e32 v9, v9, v12
	v_mul_hi_u32 v10, v2, v11
	v_mul_lo_u32 v12, v2, v9
	v_mul_hi_u32 v14, v2, v9
	v_mul_hi_u32 v13, v6, v11
	v_mul_lo_u32 v11, v6, v11
	v_mul_hi_u32 v15, v6, v9
	v_add_co_u32_e32 v10, vcc, v10, v12
	v_addc_co_u32_e32 v12, vcc, 0, v14, vcc
	v_mul_lo_u32 v9, v6, v9
	v_add_co_u32_e32 v10, vcc, v10, v11
	v_addc_co_u32_e32 v10, vcc, v12, v13, vcc
	v_addc_co_u32_e32 v11, vcc, 0, v15, vcc
	v_add_co_u32_e32 v9, vcc, v10, v9
	v_addc_co_u32_e32 v10, vcc, 0, v11, vcc
	v_add_co_u32_e32 v2, vcc, v2, v9
	v_addc_co_u32_e32 v6, vcc, v6, v10, vcc
	v_mul_lo_u32 v9, s0, v6
	v_mul_hi_u32 v10, s0, v2
	v_mul_lo_u32 v11, s1, v2
	v_mul_lo_u32 v12, s0, v2
	v_add_u32_e32 v9, v10, v9
	v_add_u32_e32 v9, v9, v11
	v_mul_lo_u32 v13, v2, v9
	v_mul_hi_u32 v14, v2, v12
	v_mul_hi_u32 v15, v2, v9
	;; [unrolled: 1-line block ×3, first 2 shown]
	v_mul_lo_u32 v12, v6, v12
	v_mul_hi_u32 v10, v6, v9
	v_add_co_u32_e32 v13, vcc, v14, v13
	v_addc_co_u32_e32 v14, vcc, 0, v15, vcc
	v_mul_lo_u32 v9, v6, v9
	v_add_co_u32_e32 v12, vcc, v13, v12
	v_addc_co_u32_e32 v11, vcc, v14, v11, vcc
	v_addc_co_u32_e32 v10, vcc, 0, v10, vcc
	v_add_co_u32_e32 v9, vcc, v11, v9
	v_addc_co_u32_e32 v10, vcc, 0, v10, vcc
	v_add_co_u32_e32 v2, vcc, v2, v9
	v_addc_co_u32_e32 v6, vcc, v6, v10, vcc
	v_mad_u64_u32 v[9:10], s[0:1], v7, v6, 0
	v_mul_hi_u32 v11, v7, v2
	v_add_co_u32_e32 v13, vcc, v11, v9
	v_addc_co_u32_e32 v14, vcc, 0, v10, vcc
	v_mad_u64_u32 v[9:10], s[0:1], v8, v2, 0
	v_mad_u64_u32 v[11:12], s[0:1], v8, v6, 0
	v_add_co_u32_e32 v2, vcc, v13, v9
	v_addc_co_u32_e32 v2, vcc, v14, v10, vcc
	v_addc_co_u32_e32 v6, vcc, 0, v12, vcc
	v_add_co_u32_e32 v2, vcc, v2, v11
	v_addc_co_u32_e32 v6, vcc, 0, v6, vcc
	v_mul_lo_u32 v11, s19, v2
	v_mul_lo_u32 v12, s18, v6
	v_mad_u64_u32 v[9:10], s[0:1], s18, v2, 0
	v_add3_u32 v10, v10, v12, v11
	v_sub_u32_e32 v11, v8, v10
	v_mov_b32_e32 v12, s19
	v_sub_co_u32_e32 v9, vcc, v7, v9
	v_subb_co_u32_e64 v11, s[0:1], v11, v12, vcc
	v_subrev_co_u32_e64 v12, s[0:1], s18, v9
	v_subbrev_co_u32_e64 v11, s[0:1], 0, v11, s[0:1]
	v_cmp_le_u32_e64 s[0:1], s19, v11
	v_cndmask_b32_e64 v13, 0, -1, s[0:1]
	v_cmp_le_u32_e64 s[0:1], s18, v12
	v_cndmask_b32_e64 v12, 0, -1, s[0:1]
	v_cmp_eq_u32_e64 s[0:1], s19, v11
	v_cndmask_b32_e64 v11, v13, v12, s[0:1]
	v_add_co_u32_e64 v12, s[0:1], 2, v2
	v_addc_co_u32_e64 v13, s[0:1], 0, v6, s[0:1]
	v_add_co_u32_e64 v14, s[0:1], 1, v2
	v_addc_co_u32_e64 v15, s[0:1], 0, v6, s[0:1]
	v_subb_co_u32_e32 v10, vcc, v8, v10, vcc
	v_cmp_ne_u32_e64 s[0:1], 0, v11
	v_cmp_le_u32_e32 vcc, s19, v10
	v_cndmask_b32_e64 v11, v15, v13, s[0:1]
	v_cndmask_b32_e64 v13, 0, -1, vcc
	v_cmp_le_u32_e32 vcc, s18, v9
	v_cndmask_b32_e64 v9, 0, -1, vcc
	v_cmp_eq_u32_e32 vcc, s19, v10
	v_cndmask_b32_e32 v9, v13, v9, vcc
	v_cmp_ne_u32_e32 vcc, 0, v9
	v_cndmask_b32_e32 v10, v6, v11, vcc
	v_cndmask_b32_e64 v6, v14, v12, s[0:1]
	v_cndmask_b32_e32 v9, v2, v6, vcc
.LBB0_4:                                ;   in Loop: Header=BB0_2 Depth=1
	s_andn2_saveexec_b64 s[0:1], s[20:21]
	s_cbranch_execz .LBB0_6
; %bb.5:                                ;   in Loop: Header=BB0_2 Depth=1
	v_cvt_f32_u32_e32 v2, s18
	s_sub_i32 s20, 0, s18
	v_rcp_iflag_f32_e32 v2, v2
	v_mul_f32_e32 v2, 0x4f7ffffe, v2
	v_cvt_u32_f32_e32 v2, v2
	v_mul_lo_u32 v6, s20, v2
	v_mul_hi_u32 v6, v2, v6
	v_add_u32_e32 v2, v2, v6
	v_mul_hi_u32 v2, v7, v2
	v_mul_lo_u32 v6, v2, s18
	v_add_u32_e32 v9, 1, v2
	v_sub_u32_e32 v6, v7, v6
	v_subrev_u32_e32 v10, s18, v6
	v_cmp_le_u32_e32 vcc, s18, v6
	v_cndmask_b32_e32 v6, v6, v10, vcc
	v_cndmask_b32_e32 v2, v2, v9, vcc
	v_add_u32_e32 v9, 1, v2
	v_cmp_le_u32_e32 vcc, s18, v6
	v_cndmask_b32_e32 v9, v2, v9, vcc
	v_mov_b32_e32 v10, v5
.LBB0_6:                                ;   in Loop: Header=BB0_2 Depth=1
	s_or_b64 exec, exec, s[0:1]
	v_mul_lo_u32 v2, v10, s18
	v_mul_lo_u32 v6, v9, s19
	v_mad_u64_u32 v[11:12], s[0:1], v9, s18, 0
	s_load_dwordx2 s[0:1], s[6:7], 0x0
	s_add_u32 s14, s14, 1
	v_add3_u32 v2, v12, v6, v2
	v_sub_co_u32_e32 v6, vcc, v7, v11
	v_subb_co_u32_e32 v2, vcc, v8, v2, vcc
	s_waitcnt lgkmcnt(0)
	v_mul_lo_u32 v2, s0, v2
	v_mul_lo_u32 v7, s1, v6
	v_mad_u64_u32 v[3:4], s[0:1], s0, v6, v[3:4]
	s_addc_u32 s15, s15, 0
	s_add_u32 s6, s6, 8
	v_add3_u32 v4, v7, v4, v2
	v_mov_b32_e32 v6, s10
	v_mov_b32_e32 v7, s11
	s_addc_u32 s7, s7, 0
	v_cmp_ge_u64_e32 vcc, s[14:15], v[6:7]
	s_add_u32 s16, s16, 8
	s_addc_u32 s17, s17, 0
	s_cbranch_vccnz .LBB0_8
; %bb.7:                                ;   in Loop: Header=BB0_2 Depth=1
	v_mov_b32_e32 v7, v9
	v_mov_b32_e32 v8, v10
	s_branch .LBB0_2
.LBB0_8:
	s_lshl_b64 s[0:1], s[10:11], 3
	s_add_u32 s0, s2, s0
	s_addc_u32 s1, s3, s1
	s_load_dwordx2 s[2:3], s[0:1], 0x0
	s_load_dwordx2 s[6:7], s[4:5], 0x20
                                        ; implicit-def: $vgpr29
                                        ; implicit-def: $vgpr26
                                        ; implicit-def: $vgpr8
                                        ; implicit-def: $vgpr13
                                        ; implicit-def: $vgpr14
                                        ; implicit-def: $vgpr17
                                        ; implicit-def: $vgpr24
                                        ; implicit-def: $vgpr22
                                        ; implicit-def: $vgpr11
                                        ; implicit-def: $vgpr18
                                        ; implicit-def: $vgpr23
                                        ; implicit-def: $vgpr38
                                        ; implicit-def: $vgpr42
                                        ; implicit-def: $vgpr46
                                        ; implicit-def: $vgpr47
                                        ; implicit-def: $vgpr30
                                        ; implicit-def: $vgpr31
                                        ; implicit-def: $vgpr39
                                        ; implicit-def: $vgpr45
                                        ; implicit-def: $vgpr27
                                        ; implicit-def: $vgpr28
                                        ; implicit-def: $vgpr32
                                        ; implicit-def: $vgpr33
	s_waitcnt lgkmcnt(0)
	v_mad_u64_u32 v[2:3], s[0:1], s2, v9, v[3:4]
	v_mul_lo_u32 v5, s2, v10
	v_mul_lo_u32 v6, s3, v9
	s_mov_b32 s0, 0x369d037
	v_mul_hi_u32 v4, v0, s0
	v_cmp_gt_u64_e64 s[0:1], s[6:7], v[9:10]
	v_add3_u32 v3, v6, v3, v5
	v_lshlrev_b64 v[6:7], 2, v[2:3]
	v_mul_u32_u24_e32 v4, 0x4b, v4
	v_sub_u32_e32 v4, v0, v4
                                        ; implicit-def: $vgpr5
                                        ; implicit-def: $vgpr2
                                        ; implicit-def: $vgpr9
                                        ; implicit-def: $vgpr10
                                        ; implicit-def: $vgpr0
	s_and_saveexec_b64 s[2:3], s[0:1]
	s_cbranch_execz .LBB0_12
; %bb.9:
	v_mov_b32_e32 v5, 0
	v_mov_b32_e32 v0, s13
	v_add_co_u32_e32 v8, vcc, s12, v6
	v_lshlrev_b64 v[2:3], 2, v[4:5]
	v_addc_co_u32_e32 v0, vcc, v0, v7, vcc
	v_add_co_u32_e32 v2, vcc, v8, v2
	v_addc_co_u32_e32 v3, vcc, v0, v3, vcc
	s_movk_i32 s4, 0x1000
	v_add_co_u32_e32 v10, vcc, s4, v2
	global_load_dword v5, v[2:3], off
	global_load_dword v8, v[2:3], off offset:300
	v_addc_co_u32_e32 v11, vcc, 0, v3, vcc
	global_load_dword v12, v[2:3], off offset:2220
	global_load_dword v16, v[2:3], off offset:1920
	;; [unrolled: 1-line block ×13, first 2 shown]
	v_cmp_gt_u32_e32 vcc, 15, v4
	s_mov_b32 s7, 0x7060302
	s_mov_b32 s6, 0x5040100
                                        ; implicit-def: $vgpr23
                                        ; implicit-def: $vgpr0
                                        ; implicit-def: $vgpr18
                                        ; implicit-def: $vgpr11
                                        ; implicit-def: $vgpr22
                                        ; implicit-def: $vgpr10
                                        ; implicit-def: $vgpr24
                                        ; implicit-def: $vgpr17
                                        ; implicit-def: $vgpr14
                                        ; implicit-def: $vgpr13
	s_and_saveexec_b64 s[4:5], vcc
	s_cbranch_execz .LBB0_11
; %bb.10:
	v_add_co_u32_e32 v10, vcc, 0x1000, v2
	v_addc_co_u32_e32 v11, vcc, 0, v3, vcc
	global_load_dword v14, v[2:3], off offset:900
	global_load_dword v23, v[2:3], off offset:1860
	;; [unrolled: 1-line block ×5, first 2 shown]
	s_waitcnt vmcnt(4)
	v_lshrrev_b32_e32 v13, 16, v14
	s_waitcnt vmcnt(3)
	v_lshrrev_b32_e32 v0, 16, v23
	;; [unrolled: 2-line block ×5, first 2 shown]
.LBB0_11:
	s_or_b64 exec, exec, s[4:5]
	s_waitcnt vmcnt(14)
	v_lshrrev_b32_e32 v29, 16, v5
	s_waitcnt vmcnt(13)
	v_lshrrev_b32_e32 v26, 16, v8
	;; [unrolled: 2-line block ×3, first 2 shown]
	v_perm_b32 v38, v16, v25, s7
	s_waitcnt vmcnt(1)
	v_perm_b32 v42, v31, v30, s7
	v_perm_b32 v46, v16, v25, s6
	;; [unrolled: 1-line block ×7, first 2 shown]
	s_waitcnt vmcnt(0)
	v_perm_b32 v27, v32, v15, s7
	v_perm_b32 v28, v21, v20, s7
	;; [unrolled: 1-line block ×4, first 2 shown]
.LBB0_12:
	s_or_b64 exec, exec, s[2:3]
	s_mov_b32 s2, 0xaaaaaaab
	v_mul_hi_u32 v3, v1, s2
	s_movk_i32 s2, 0x3b9c
	v_pk_add_f16 v12, v46, v47
	v_pk_fma_f16 v12, v12, 0.5, v5 op_sel_hi:[1,0,0] neg_lo:[1,0,0] neg_hi:[1,0,0]
	v_lshrrev_b32_e32 v3, 1, v3
	v_lshl_add_u32 v3, v3, 1, v3
	v_sub_u32_e32 v1, v1, v3
	v_pk_add_f16 v3, v38, v42 neg_lo:[0,1] neg_hi:[0,1]
	v_pk_mul_f16 v15, v3, s2 op_sel_hi:[1,0]
	v_pk_add_f16 v16, v46, v46 op_sel:[1,0] op_sel_hi:[0,1] neg_lo:[0,1] neg_hi:[0,1]
	v_pk_add_f16 v19, v47, v47 op_sel:[1,0] op_sel_hi:[0,1] neg_lo:[0,1] neg_hi:[0,1]
	v_pk_add_f16 v16, v16, v19
	v_pk_add_f16 v19, v12, v15 op_sel:[0,1] op_sel_hi:[1,0]
	v_pk_add_f16 v12, v12, v15 op_sel:[0,1] op_sel_hi:[1,0] neg_lo:[0,1] neg_hi:[0,1]
	s_mov_b32 s5, 0xffff
	s_movk_i32 s3, 0x38b4
	v_bfi_b32 v15, s5, v12, v19
	s_movk_i32 s4, 0x34f2
	v_mul_u32_u24_e32 v1, 0x4b0, v1
	v_bfi_b32 v12, s5, v19, v12
	v_pk_fma_f16 v15, v3, s3, v15 op_sel_hi:[1,0,1]
	v_mad_u32_u24 v21, v4, 10, 0
	v_pk_fma_f16 v3, v3, s3, v12 op_sel_hi:[1,0,1] neg_lo:[1,0,0] neg_hi:[1,0,0]
	v_lshlrev_b32_e32 v12, 1, v1
	v_pk_fma_f16 v15, v16, s4, v15 op_sel_hi:[1,0,1]
	v_pk_fma_f16 v16, v16, s4, v3 op_sel_hi:[1,0,1]
	v_alignbit_b32 v15, v15, v15, 16
	v_add_u32_e32 v49, v21, v12
	ds_write_b64 v49, v[15:16] offset:2
	v_pk_add_f16 v3, v39, v39 op_sel:[1,0] op_sel_hi:[0,1] neg_lo:[0,1] neg_hi:[0,1]
	v_pk_add_f16 v15, v45, v45 op_sel:[1,0] op_sel_hi:[0,1] neg_lo:[0,1] neg_hi:[0,1]
	v_pk_add_f16 v3, v3, v15
	v_pk_add_f16 v15, v39, v45
	v_pk_add_f16 v16, v30, v31 neg_lo:[0,1] neg_hi:[0,1]
	v_pk_fma_f16 v15, v15, 0.5, v8 op_sel_hi:[1,0,0] neg_lo:[1,0,0] neg_hi:[1,0,0]
	v_pk_mul_f16 v19, v16, s2 op_sel_hi:[1,0]
	v_pk_add_f16 v20, v15, v19 op_sel:[0,1] op_sel_hi:[1,0]
	v_pk_add_f16 v15, v15, v19 op_sel:[0,1] op_sel_hi:[1,0] neg_lo:[0,1] neg_hi:[0,1]
	v_bfi_b32 v19, s5, v15, v20
	v_bfi_b32 v15, s5, v20, v15
	v_pk_fma_f16 v19, v16, s3, v19 op_sel_hi:[1,0,1]
	v_pk_fma_f16 v15, v16, s3, v15 op_sel_hi:[1,0,1] neg_lo:[1,0,0] neg_hi:[1,0,0]
	v_pk_fma_f16 v19, v3, s4, v19 op_sel_hi:[1,0,1]
	v_pk_fma_f16 v16, v3, s4, v15 op_sel_hi:[1,0,1]
	v_alignbit_b32 v15, v19, v19, 16
	ds_write_b64 v49, v[15:16] offset:752
	v_pk_add_f16 v3, v32, v32 op_sel:[1,0] op_sel_hi:[0,1] neg_lo:[0,1] neg_hi:[0,1]
	v_pk_add_f16 v15, v33, v33 op_sel:[1,0] op_sel_hi:[0,1] neg_lo:[0,1] neg_hi:[0,1]
	v_pk_add_f16 v3, v3, v15
	v_pk_add_f16 v15, v32, v33
	v_pk_add_f16 v16, v27, v28 neg_lo:[0,1] neg_hi:[0,1]
	v_pk_fma_f16 v15, v15, 0.5, v9 op_sel_hi:[1,0,0] neg_lo:[1,0,0] neg_hi:[1,0,0]
	v_pk_mul_f16 v19, v16, s2 op_sel_hi:[1,0]
	v_pk_add_f16 v20, v15, v19 op_sel:[0,1] op_sel_hi:[1,0]
	v_pk_add_f16 v15, v15, v19 op_sel:[0,1] op_sel_hi:[1,0] neg_lo:[0,1] neg_hi:[0,1]
	v_bfi_b32 v19, s5, v15, v20
	v_bfi_b32 v15, s5, v20, v15
	v_pk_fma_f16 v19, v16, s3, v19 op_sel_hi:[1,0,1]
	v_pk_fma_f16 v15, v16, s3, v15 op_sel_hi:[1,0,1] neg_lo:[1,0,0] neg_hi:[1,0,0]
	v_pk_fma_f16 v16, v3, s4, v19 op_sel_hi:[1,0,1]
	v_pk_fma_f16 v20, v3, s4, v15 op_sel_hi:[1,0,1]
	v_alignbit_b32 v19, v16, v16, 16
	v_add_u32_e32 v15, 0x5dc, v21
	v_sub_f16_e32 v3, v23, v18
	v_sub_f16_e32 v16, v24, v22
	v_add_u32_e32 v51, v15, v12
	v_add_f16_e32 v3, v16, v3
	v_add_f16_e32 v16, v22, v18
	ds_write_b64 v51, v[19:20] offset:2
	v_fma_f16 v16, v16, -0.5, v14
	v_sub_f16_e32 v20, v0, v17
	s_mov_b32 s5, 0xbb9c
	v_fma_f16 v19, v20, s2, v16
	v_sub_f16_e32 v25, v11, v10
	v_fma_f16 v16, v20, s5, v16
	s_mov_b32 s6, 0xb8b4
	v_fma_f16 v19, v25, s3, v19
	v_fma_f16 v16, v25, s6, v16
	;; [unrolled: 1-line block ×4, first 2 shown]
	v_sub_f16_e32 v3, v18, v23
	v_sub_f16_e32 v16, v22, v24
	v_add_f16_e32 v3, v16, v3
	v_add_f16_e32 v16, v24, v23
	v_fma_f16 v16, v16, -0.5, v14
	v_fma_f16 v34, v25, s5, v16
	v_fma_f16 v16, v25, s2, v16
	;; [unrolled: 1-line block ×6, first 2 shown]
	v_add_f16_e32 v3, v46, v5
	v_add_f16_sdwa v3, v3, v46 dst_sel:DWORD dst_unused:UNUSED_PAD src0_sel:DWORD src1_sel:WORD_1
	v_add_f16_sdwa v3, v3, v47 dst_sel:DWORD dst_unused:UNUSED_PAD src0_sel:DWORD src1_sel:WORD_1
	v_add_f16_e32 v3, v3, v47
	ds_write_b16 v49, v3
	v_add_f16_e32 v3, v39, v8
	v_add_f16_sdwa v3, v3, v39 dst_sel:DWORD dst_unused:UNUSED_PAD src0_sel:DWORD src1_sel:WORD_1
	v_add_f16_sdwa v3, v3, v45 dst_sel:DWORD dst_unused:UNUSED_PAD src0_sel:DWORD src1_sel:WORD_1
	v_add_f16_e32 v3, v3, v45
	ds_write_b16 v49, v3 offset:750
	v_add_f16_e32 v3, v32, v9
	v_add_f16_sdwa v3, v3, v32 dst_sel:DWORD dst_unused:UNUSED_PAD src0_sel:DWORD src1_sel:WORD_1
	v_add_f16_sdwa v3, v3, v33 dst_sel:DWORD dst_unused:UNUSED_PAD src0_sel:DWORD src1_sel:WORD_1
	v_add_f16_e32 v3, v3, v33
	ds_write_b16 v51, v3
	v_add_f16_e32 v3, v14, v23
	v_add_f16_e32 v3, v18, v3
	;; [unrolled: 1-line block ×4, first 2 shown]
	v_cmp_gt_u32_e32 vcc, 15, v4
	s_and_saveexec_b64 s[2:3], vcc
	s_cbranch_execz .LBB0_14
; %bb.13:
	s_mov_b32 s4, 0x5040100
	v_lshl_add_u32 v1, v1, 1, v15
	v_perm_b32 v9, v20, v25, s4
	v_perm_b32 v8, v21, v3, s4
	ds_write_b64 v1, v[8:9] offset:750
	ds_write_b16 v1, v19 offset:758
.LBB0_14:
	s_or_b64 exec, exec, s[2:3]
	v_lshlrev_b32_e32 v8, 1, v4
	v_add3_u32 v9, 0, v12, v8
	s_waitcnt lgkmcnt(0)
	s_barrier
	v_add3_u32 v5, 0, v8, v12
	ds_read_u16 v15, v9
	ds_read_u16 v14, v5 offset:150
	ds_read_u16 v37, v5 offset:630
	;; [unrolled: 1-line block ×14, first 2 shown]
	v_add_u32_e32 v56, 0x2ee, v49
	s_and_saveexec_b64 s[2:3], vcc
	s_cbranch_execz .LBB0_16
; %bb.15:
	ds_read_u16 v3, v5 offset:450
	ds_read_u16 v21, v5 offset:930
	;; [unrolled: 1-line block ×5, first 2 shown]
.LBB0_16:
	s_or_b64 exec, exec, s[2:3]
	v_add_f16_e32 v1, v38, v29
	v_add_f16_sdwa v1, v1, v38 dst_sel:DWORD dst_unused:UNUSED_PAD src0_sel:DWORD src1_sel:WORD_1
	v_add_f16_sdwa v1, v1, v42 dst_sel:DWORD dst_unused:UNUSED_PAD src0_sel:DWORD src1_sel:WORD_1
	v_add_f16_e32 v57, v1, v42
	v_pk_add_f16 v1, v46, v47 neg_lo:[0,1] neg_hi:[0,1]
	v_pk_add_f16 v46, v38, v42
	v_pk_fma_f16 v29, v46, 0.5, v29 op_sel_hi:[1,0,0] neg_lo:[1,0,0] neg_hi:[1,0,0]
	s_movk_i32 s2, 0x3b9c
	v_pk_fma_f16 v46, v1, s2, v29 op_sel:[0,0,1] op_sel_hi:[1,0,0] neg_lo:[1,0,0] neg_hi:[1,0,0]
	v_pk_fma_f16 v47, v1, s2, v29 op_sel:[0,0,1] op_sel_hi:[1,0,0]
	s_mov_b32 s3, 0xffff
	s_movk_i32 s4, 0x38b4
	v_pk_add_f16 v38, v38, v38 op_sel:[0,1] op_sel_hi:[1,0] neg_lo:[0,1] neg_hi:[0,1]
	v_pk_add_f16 v42, v42, v42 op_sel:[0,1] op_sel_hi:[1,0] neg_lo:[0,1] neg_hi:[0,1]
	v_bfi_b32 v29, s3, v46, v47
	v_pk_mul_f16 v1, v1, s4 op_sel_hi:[1,0]
	v_pk_add_f16 v38, v38, v42
	v_bfi_b32 v42, s3, v47, v46
	v_pk_add_f16 v29, v29, v1 op_sel:[0,1] op_sel_hi:[1,0] neg_lo:[0,1] neg_hi:[0,1]
	s_movk_i32 s5, 0x34f2
	v_pk_add_f16 v1, v1, v42 op_sel:[1,0] op_sel_hi:[0,1]
	v_pk_fma_f16 v29, v38, s5, v29 op_sel_hi:[1,0,1]
	v_pk_fma_f16 v38, v38, s5, v1 op_sel_hi:[1,0,1]
	v_add_f16_e32 v1, v30, v26
	v_add_f16_sdwa v1, v1, v30 dst_sel:DWORD dst_unused:UNUSED_PAD src0_sel:DWORD src1_sel:WORD_1
	v_add_f16_sdwa v1, v1, v31 dst_sel:DWORD dst_unused:UNUSED_PAD src0_sel:DWORD src1_sel:WORD_1
	v_add_f16_e32 v42, v1, v31
	v_pk_add_f16 v1, v39, v45 neg_lo:[0,1] neg_hi:[0,1]
	v_pk_add_f16 v39, v30, v31
	v_pk_fma_f16 v26, v39, 0.5, v26 op_sel_hi:[1,0,0] neg_lo:[1,0,0] neg_hi:[1,0,0]
	v_pk_fma_f16 v39, v1, s2, v26 op_sel:[0,0,1] op_sel_hi:[1,0,0] neg_lo:[1,0,0] neg_hi:[1,0,0]
	v_pk_fma_f16 v45, v1, s2, v26 op_sel:[0,0,1] op_sel_hi:[1,0,0]
	v_pk_add_f16 v30, v30, v30 op_sel:[0,1] op_sel_hi:[1,0] neg_lo:[0,1] neg_hi:[0,1]
	v_pk_add_f16 v31, v31, v31 op_sel:[0,1] op_sel_hi:[1,0] neg_lo:[0,1] neg_hi:[0,1]
	v_bfi_b32 v26, s3, v39, v45
	v_pk_mul_f16 v1, v1, s4 op_sel_hi:[1,0]
	v_pk_add_f16 v30, v30, v31
	v_bfi_b32 v31, s3, v45, v39
	v_pk_add_f16 v26, v26, v1 op_sel:[0,1] op_sel_hi:[1,0] neg_lo:[0,1] neg_hi:[0,1]
	v_pk_add_f16 v1, v1, v31 op_sel:[1,0] op_sel_hi:[0,1]
	v_pk_fma_f16 v31, v30, s5, v1 op_sel_hi:[1,0,1]
	v_add_f16_e32 v1, v27, v2
	v_add_f16_sdwa v1, v1, v27 dst_sel:DWORD dst_unused:UNUSED_PAD src0_sel:DWORD src1_sel:WORD_1
	v_pk_fma_f16 v26, v30, s5, v26 op_sel_hi:[1,0,1]
	v_add_f16_sdwa v1, v1, v28 dst_sel:DWORD dst_unused:UNUSED_PAD src0_sel:DWORD src1_sel:WORD_1
	v_pk_add_f16 v30, v27, v28
	v_add_f16_e32 v39, v1, v28
	v_pk_add_f16 v1, v32, v33 neg_lo:[0,1] neg_hi:[0,1]
	v_pk_fma_f16 v2, v30, 0.5, v2 op_sel_hi:[1,0,0] neg_lo:[1,0,0] neg_hi:[1,0,0]
	v_pk_fma_f16 v30, v1, s2, v2 op_sel:[0,0,1] op_sel_hi:[1,0,0] neg_lo:[1,0,0] neg_hi:[1,0,0]
	v_pk_fma_f16 v2, v1, s2, v2 op_sel:[0,0,1] op_sel_hi:[1,0,0]
	v_bfi_b32 v32, s3, v30, v2
	v_pk_mul_f16 v1, v1, s4 op_sel_hi:[1,0]
	v_pk_add_f16 v27, v27, v27 op_sel:[0,1] op_sel_hi:[1,0] neg_lo:[0,1] neg_hi:[0,1]
	v_pk_add_f16 v28, v28, v28 op_sel:[0,1] op_sel_hi:[1,0] neg_lo:[0,1] neg_hi:[0,1]
	v_bfi_b32 v2, s3, v2, v30
	v_pk_add_f16 v32, v32, v1 op_sel:[0,1] op_sel_hi:[1,0] neg_lo:[0,1] neg_hi:[0,1]
	v_pk_add_f16 v27, v27, v28
	v_pk_add_f16 v1, v1, v2 op_sel:[1,0] op_sel_hi:[0,1]
	v_pk_fma_f16 v28, v27, s5, v32 op_sel_hi:[1,0,1]
	v_pk_fma_f16 v32, v27, s5, v1 op_sel_hi:[1,0,1]
	v_add_f16_e32 v1, v13, v0
	v_add_f16_e32 v1, v11, v1
	;; [unrolled: 1-line block ×5, first 2 shown]
	v_fma_f16 v1, v1, -0.5, v13
	v_sub_f16_e32 v23, v23, v24
	s_mov_b32 s3, 0xbb9c
	v_fma_f16 v24, v23, s3, v1
	v_sub_f16_e32 v18, v18, v22
	v_fma_f16 v22, v18, s6, v24
	v_sub_f16_e32 v24, v0, v11
	v_sub_f16_e32 v27, v17, v10
	v_fma_f16 v1, v23, s2, v1
	v_add_f16_e32 v24, v27, v24
	v_fma_f16 v1, v18, s4, v1
	v_fma_f16 v48, v24, s5, v1
	v_add_f16_e32 v1, v17, v0
	v_fma_f16 v1, v1, -0.5, v13
	v_fma_f16 v13, v18, s2, v1
	v_sub_f16_e32 v0, v11, v0
	v_sub_f16_e32 v10, v10, v17
	v_fma_f16 v1, v18, s3, v1
	v_fma_f16 v13, v23, s6, v13
	v_add_f16_e32 v0, v10, v0
	v_fma_f16 v1, v23, s4, v1
	v_mul_f16_e32 v0, 0x34f2, v0
	v_pack_b32_f16 v1, v13, v1
	v_alignbit_b32 v30, v38, v38, 16
	v_fma_f16 v50, v24, s5, v22
	v_pk_add_f16 v1, v0, v1 op_sel_hi:[0,1]
	v_add_u32_e32 v10, 0xe1, v4
	s_waitcnt lgkmcnt(0)
	s_barrier
	ds_write_b16 v49, v57
	ds_write_b64 v49, v[29:30] offset:2
	ds_write_b16 v56, v42
	v_alignbit_b32 v27, v31, v31, 16
	v_alignbit_b32 v29, v32, v32, 16
	ds_write_b64 v56, v[26:27] offset:2
	ds_write_b16 v51, v39
	ds_write_b64 v51, v[28:29] offset:2
	s_and_saveexec_b64 s[2:3], vcc
	s_cbranch_execz .LBB0_18
; %bb.17:
	v_mul_u32_u24_e32 v0, 10, v10
	s_mov_b32 s4, 0x5040100
	v_add3_u32 v11, 0, v0, v12
	v_perm_b32 v0, v50, v2, s4
	ds_write_b64 v11, v[0:1]
	ds_write_b16 v11, v48 offset:8
.LBB0_18:
	s_or_b64 exec, exec, s[2:3]
	s_waitcnt lgkmcnt(0)
	s_barrier
	ds_read_u16 v18, v9
	ds_read_u16 v17, v5 offset:150
	ds_read_u16 v33, v5 offset:630
	;; [unrolled: 1-line block ×14, first 2 shown]
	v_lshrrev_b32_e32 v51, 16, v1
	s_and_saveexec_b64 s[2:3], vcc
	s_cbranch_execz .LBB0_20
; %bb.19:
	ds_read_u16 v2, v5 offset:450
	ds_read_u16 v50, v5 offset:930
	;; [unrolled: 1-line block ×5, first 2 shown]
.LBB0_20:
	s_or_b64 exec, exec, s[2:3]
	s_movk_i32 s4, 0xcd
	v_mul_lo_u16_sdwa v11, v4, s4 dst_sel:DWORD dst_unused:UNUSED_PAD src0_sel:BYTE_0 src1_sel:DWORD
	v_lshrrev_b16_e32 v64, 10, v11
	v_mul_lo_u16_e32 v11, 5, v64
	v_sub_u16_e32 v65, v4, v11
	v_mov_b32_e32 v24, 4
	v_lshlrev_b32_sdwa v11, v24, v65 dst_sel:DWORD dst_unused:UNUSED_PAD src0_sel:DWORD src1_sel:BYTE_0
	global_load_dwordx4 v[56:59], v11, s[8:9]
	v_add_u32_e32 v13, 0x4b, v4
	v_mul_lo_u16_sdwa v11, v13, s4 dst_sel:DWORD dst_unused:UNUSED_PAD src0_sel:BYTE_0 src1_sel:DWORD
	v_lshrrev_b16_e32 v66, 10, v11
	v_mul_lo_u16_e32 v11, 5, v66
	v_sub_u16_e32 v67, v13, v11
	v_lshlrev_b32_sdwa v11, v24, v67 dst_sel:DWORD dst_unused:UNUSED_PAD src0_sel:DWORD src1_sel:BYTE_0
	global_load_dwordx4 v[60:63], v11, s[8:9]
	v_add_u32_e32 v11, 0x96, v4
	s_mov_b32 s2, 0xcccd
	v_mul_lo_u16_sdwa v28, v11, s4 dst_sel:DWORD dst_unused:UNUSED_PAD src0_sel:BYTE_0 src1_sel:DWORD
	v_mul_u32_u24_sdwa v29, v10, s2 dst_sel:DWORD dst_unused:UNUSED_PAD src0_sel:WORD_0 src1_sel:DWORD
	v_lshrrev_b16_e32 v68, 10, v28
	v_lshrrev_b32_e32 v28, 18, v29
	v_mul_lo_u16_e32 v29, 5, v68
	v_sub_u16_e32 v69, v11, v29
	v_mul_lo_u16_e32 v28, 5, v28
	v_lshlrev_b32_sdwa v70, v24, v69 dst_sel:DWORD dst_unused:UNUSED_PAD src0_sel:DWORD src1_sel:BYTE_0
	v_sub_u16_e32 v32, v10, v28
	s_movk_i32 s5, 0x3b9c
	s_mov_b32 s11, 0xbb9c
	s_mov_b32 s10, 0xb8b4
	s_movk_i32 s6, 0x34f2
	s_movk_i32 s7, 0x38b4
	s_waitcnt vmcnt(1) lgkmcnt(7)
	v_mul_f16_sdwa v24, v22, v56 dst_sel:DWORD dst_unused:UNUSED_PAD src0_sel:DWORD src1_sel:WORD_1
	v_fma_f16 v28, v54, v56, -v24
	v_mul_f16_sdwa v24, v54, v56 dst_sel:DWORD dst_unused:UNUSED_PAD src0_sel:DWORD src1_sel:WORD_1
	v_fma_f16 v22, v22, v56, v24
	v_mul_f16_sdwa v24, v23, v57 dst_sel:DWORD dst_unused:UNUSED_PAD src0_sel:DWORD src1_sel:WORD_1
	v_fma_f16 v29, v52, v57, -v24
	v_mul_f16_sdwa v24, v52, v57 dst_sel:DWORD dst_unused:UNUSED_PAD src0_sel:DWORD src1_sel:WORD_1
	v_fma_f16 v24, v23, v57, v24
	s_waitcnt lgkmcnt(1)
	v_mul_f16_sdwa v23, v26, v58 dst_sel:DWORD dst_unused:UNUSED_PAD src0_sel:DWORD src1_sel:WORD_1
	v_fma_f16 v30, v55, v58, -v23
	v_mul_f16_sdwa v23, v55, v58 dst_sel:DWORD dst_unused:UNUSED_PAD src0_sel:DWORD src1_sel:WORD_1
	v_fma_f16 v26, v26, v58, v23
	v_mul_f16_sdwa v23, v27, v59 dst_sel:DWORD dst_unused:UNUSED_PAD src0_sel:DWORD src1_sel:WORD_1
	v_fma_f16 v31, v53, v59, -v23
	v_mul_f16_sdwa v23, v53, v59 dst_sel:DWORD dst_unused:UNUSED_PAD src0_sel:DWORD src1_sel:WORD_1
	global_load_dwordx4 v[52:55], v70, s[8:9]
	v_lshlrev_b32_e32 v56, 4, v32
	v_fma_f16 v27, v27, v59, v23
	global_load_dwordx4 v[56:59], v56, s[8:9]
	s_waitcnt vmcnt(2)
	v_mul_f16_sdwa v23, v33, v60 dst_sel:DWORD dst_unused:UNUSED_PAD src0_sel:DWORD src1_sel:WORD_1
	v_fma_f16 v23, v37, v60, -v23
	v_mul_f16_sdwa v37, v37, v60 dst_sel:DWORD dst_unused:UNUSED_PAD src0_sel:DWORD src1_sel:WORD_1
	v_fma_f16 v33, v33, v60, v37
	v_mul_f16_sdwa v37, v38, v61 dst_sel:DWORD dst_unused:UNUSED_PAD src0_sel:DWORD src1_sel:WORD_1
	v_fma_f16 v37, v34, v61, -v37
	v_mul_f16_sdwa v34, v34, v61 dst_sel:DWORD dst_unused:UNUSED_PAD src0_sel:DWORD src1_sel:WORD_1
	v_fma_f16 v34, v38, v61, v34
	;; [unrolled: 4-line block ×4, first 2 shown]
	s_waitcnt vmcnt(0) lgkmcnt(0)
	s_barrier
	v_lshlrev_b32_e32 v32, 1, v32
	v_mul_f16_sdwa v42, v45, v52 dst_sel:DWORD dst_unused:UNUSED_PAD src0_sel:DWORD src1_sel:WORD_1
	v_mul_f16_sdwa v60, v40, v52 dst_sel:DWORD dst_unused:UNUSED_PAD src0_sel:DWORD src1_sel:WORD_1
	v_fma_f16 v42, v40, v52, -v42
	v_mul_f16_sdwa v61, v46, v53 dst_sel:DWORD dst_unused:UNUSED_PAD src0_sel:DWORD src1_sel:WORD_1
	v_fma_f16 v40, v45, v52, v60
	v_mul_f16_sdwa v52, v43, v53 dst_sel:DWORD dst_unused:UNUSED_PAD src0_sel:DWORD src1_sel:WORD_1
	v_fma_f16 v45, v43, v53, -v61
	v_mul_f16_sdwa v60, v47, v54 dst_sel:DWORD dst_unused:UNUSED_PAD src0_sel:DWORD src1_sel:WORD_1
	v_fma_f16 v43, v46, v53, v52
	;; [unrolled: 4-line block ×4, first 2 shown]
	v_mul_f16_sdwa v52, v21, v56 dst_sel:DWORD dst_unused:UNUSED_PAD src0_sel:DWORD src1_sel:WORD_1
	v_mul_f16_sdwa v60, v51, v58 dst_sel:DWORD dst_unused:UNUSED_PAD src0_sel:DWORD src1_sel:WORD_1
	;; [unrolled: 1-line block ×3, first 2 shown]
	v_fma_f16 v49, v21, v56, -v53
	v_fma_f16 v21, v50, v56, v52
	v_fma_f16 v50, v20, v58, -v60
	v_fma_f16 v20, v51, v58, v61
	v_mul_f16_sdwa v51, v48, v59 dst_sel:DWORD dst_unused:UNUSED_PAD src0_sel:DWORD src1_sel:WORD_1
	v_fma_f16 v51, v19, v59, -v51
	v_mul_f16_sdwa v19, v19, v59 dst_sel:DWORD dst_unused:UNUSED_PAD src0_sel:DWORD src1_sel:WORD_1
	v_fma_f16 v19, v48, v59, v19
	v_add_f16_e32 v48, v29, v30
	v_mul_f16_sdwa v54, v1, v57 dst_sel:DWORD dst_unused:UNUSED_PAD src0_sel:DWORD src1_sel:WORD_1
	v_mul_f16_sdwa v55, v25, v57 dst_sel:DWORD dst_unused:UNUSED_PAD src0_sel:DWORD src1_sel:WORD_1
	v_fma_f16 v48, v48, -0.5, v15
	v_sub_f16_e32 v52, v22, v27
	v_fma_f16 v25, v25, v57, -v54
	v_fma_f16 v1, v1, v57, v55
	v_fma_f16 v53, v52, s5, v48
	v_sub_f16_e32 v54, v24, v26
	v_sub_f16_e32 v55, v28, v29
	v_sub_f16_e32 v56, v31, v30
	v_fma_f16 v48, v52, s11, v48
	v_add_f16_e32 v55, v55, v56
	v_fma_f16 v48, v54, s10, v48
	v_fma_f16 v56, v55, s6, v48
	v_add_f16_e32 v48, v28, v31
	v_fma_f16 v53, v54, s7, v53
	v_fma_f16 v48, v48, -0.5, v15
	v_fma_f16 v53, v55, s6, v53
	v_fma_f16 v55, v54, s11, v48
	v_sub_f16_e32 v57, v29, v28
	v_sub_f16_e32 v58, v30, v31
	v_fma_f16 v48, v54, s5, v48
	v_add_f16_e32 v57, v57, v58
	v_fma_f16 v48, v52, s10, v48
	v_fma_f16 v55, v52, s7, v55
	;; [unrolled: 1-line block ×3, first 2 shown]
	v_add_f16_e32 v48, v37, v38
	v_fma_f16 v48, v48, -0.5, v14
	v_sub_f16_e32 v54, v33, v36
	v_fma_f16 v58, v57, s6, v55
	v_fma_f16 v55, v54, s5, v48
	v_sub_f16_e32 v57, v34, v35
	v_sub_f16_e32 v59, v23, v37
	;; [unrolled: 1-line block ×3, first 2 shown]
	v_fma_f16 v48, v54, s11, v48
	v_fma_f16 v55, v57, s7, v55
	v_add_f16_e32 v59, v59, v60
	v_fma_f16 v48, v57, s10, v48
	v_fma_f16 v60, v59, s6, v55
	;; [unrolled: 1-line block ×3, first 2 shown]
	v_add_f16_e32 v48, v23, v39
	v_fma_f16 v48, v48, -0.5, v14
	v_sub_f16_e32 v55, v37, v23
	v_sub_f16_e32 v61, v38, v39
	v_add_f16_e32 v55, v55, v61
	v_fma_f16 v61, v57, s11, v48
	v_fma_f16 v48, v57, s5, v48
	;; [unrolled: 1-line block ×6, first 2 shown]
	v_add_f16_e32 v48, v45, v46
	v_sub_f16_e32 v54, v42, v45
	v_sub_f16_e32 v55, v47, v46
	v_fma_f16 v48, v48, -0.5, v16
	v_add_f16_e32 v54, v54, v55
	v_sub_f16_e32 v55, v40, v41
	v_fma_f16 v57, v55, s5, v48
	v_sub_f16_e32 v63, v43, v44
	v_fma_f16 v48, v55, s11, v48
	v_fma_f16 v57, v63, s7, v57
	;; [unrolled: 1-line block ×5, first 2 shown]
	v_sub_f16_e32 v48, v45, v42
	v_sub_f16_e32 v54, v46, v47
	v_add_f16_e32 v48, v48, v54
	v_add_f16_e32 v54, v42, v47
	v_fma_f16 v54, v54, -0.5, v16
	v_fma_f16 v57, v63, s11, v54
	v_fma_f16 v54, v63, s5, v54
	;; [unrolled: 1-line block ×6, first 2 shown]
	v_sub_f16_e32 v48, v49, v25
	v_sub_f16_e32 v54, v51, v50
	v_add_f16_e32 v54, v48, v54
	v_sub_f16_e32 v48, v25, v49
	v_sub_f16_e32 v55, v50, v51
	v_add_f16_e32 v15, v15, v28
	v_add_f16_e32 v55, v48, v55
	v_mad_u32_u24 v48, v64, 50, 0
	v_mov_b32_e32 v64, 1
	v_add_f16_e32 v15, v15, v29
	v_lshlrev_b32_sdwa v57, v64, v65 dst_sel:DWORD dst_unused:UNUSED_PAD src0_sel:DWORD src1_sel:BYTE_0
	v_add_f16_e32 v15, v15, v30
	v_add3_u32 v48, v48, v57, v12
	v_add_f16_e32 v15, v15, v31
	ds_write_b16 v48, v15
	ds_write_b16 v48, v53 offset:10
	ds_write_b16 v48, v58 offset:20
	v_add_f16_e32 v15, v16, v42
	v_add_f16_e32 v15, v15, v45
	;; [unrolled: 1-line block ×8, first 2 shown]
	ds_write_b16 v48, v52 offset:30
	v_fma_f16 v16, v15, -0.5, v3
	ds_write_b16 v48, v56 offset:40
	v_sub_f16_e32 v56, v21, v19
	v_mad_u32_u24 v15, v66, 50, 0
	v_lshlrev_b32_sdwa v52, v64, v67 dst_sel:DWORD dst_unused:UNUSED_PAD src0_sel:DWORD src1_sel:BYTE_0
	v_add_f16_e32 v14, v14, v39
	v_add3_u32 v52, v15, v52, v12
	v_fma_f16 v15, v56, s5, v16
	v_sub_f16_e32 v57, v1, v20
	ds_write_b16 v52, v14
	v_fma_f16 v14, v57, s7, v15
	v_add_f16_e32 v15, v49, v51
	v_fma_f16 v58, v15, -0.5, v3
	v_fma_f16 v15, v57, s11, v58
	ds_write_b16 v52, v60 offset:10
	ds_write_b16 v52, v61 offset:20
	v_fma_f16 v15, v56, s7, v15
	ds_write_b16 v52, v62 offset:30
	ds_write_b16 v52, v59 offset:40
	v_mad_u32_u24 v53, v68, 50, 0
	v_lshlrev_b32_sdwa v59, v64, v69 dst_sel:DWORD dst_unused:UNUSED_PAD src0_sel:DWORD src1_sel:BYTE_0
	v_fma_f16 v14, v54, s6, v14
	v_fma_f16 v15, v55, s6, v15
	v_add3_u32 v53, v53, v59, v12
	ds_write_b16 v53, v65
	ds_write_b16 v53, v70 offset:10
	ds_write_b16 v53, v63 offset:20
	;; [unrolled: 1-line block ×4, first 2 shown]
	s_and_saveexec_b64 s[2:3], vcc
	s_cbranch_execz .LBB0_22
; %bb.21:
	v_mul_f16_e32 v59, 0x3b9c, v56
	v_mul_f16_e32 v60, 0x38b4, v57
	v_sub_f16_e32 v16, v16, v59
	v_mul_f16_e32 v54, 0x34f2, v54
	v_sub_f16_e32 v16, v16, v60
	v_add_f16_e32 v16, v54, v16
	v_add_f16_e32 v3, v3, v49
	v_mul_lo_u16_sdwa v54, v10, s4 dst_sel:DWORD dst_unused:UNUSED_PAD src0_sel:BYTE_0 src1_sel:DWORD
	v_mul_f16_e32 v57, 0x3b9c, v57
	v_add_f16_e32 v3, v3, v25
	v_lshrrev_b16_e32 v54, 10, v54
	v_mul_f16_e32 v56, 0x38b4, v56
	v_add_f16_e32 v57, v57, v58
	v_add_f16_e32 v3, v3, v50
	v_mad_u32_u24 v54, v54, 50, 0
	v_mul_f16_e32 v55, 0x34f2, v55
	v_sub_f16_e32 v56, v57, v56
	v_add_f16_e32 v3, v3, v51
	v_add3_u32 v54, v54, v32, v12
	v_add_f16_e32 v55, v55, v56
	ds_write_b16 v54, v3
	ds_write_b16 v54, v14 offset:10
	ds_write_b16 v54, v15 offset:20
	;; [unrolled: 1-line block ×4, first 2 shown]
.LBB0_22:
	s_or_b64 exec, exec, s[2:3]
	v_add_f16_e32 v3, v18, v22
	v_add_f16_e32 v3, v3, v24
	;; [unrolled: 1-line block ×5, first 2 shown]
	v_fma_f16 v3, v3, -0.5, v18
	v_sub_f16_e32 v16, v28, v31
	v_fma_f16 v28, v16, s11, v3
	v_sub_f16_e32 v29, v29, v30
	v_sub_f16_e32 v30, v22, v24
	;; [unrolled: 1-line block ×3, first 2 shown]
	v_fma_f16 v3, v16, s5, v3
	v_add_f16_e32 v30, v30, v31
	v_fma_f16 v3, v29, s7, v3
	v_fma_f16 v56, v30, s6, v3
	v_add_f16_e32 v3, v22, v27
	v_fma_f16 v3, v3, -0.5, v18
	v_fma_f16 v18, v29, s5, v3
	v_sub_f16_e32 v22, v24, v22
	v_sub_f16_e32 v24, v26, v27
	v_fma_f16 v3, v29, s11, v3
	v_add_f16_e32 v22, v22, v24
	v_fma_f16 v3, v16, s7, v3
	v_fma_f16 v58, v22, s6, v3
	v_add_f16_e32 v3, v17, v33
	v_add_f16_e32 v3, v3, v34
	;; [unrolled: 1-line block ×5, first 2 shown]
	v_fma_f16 v18, v16, s10, v18
	v_fma_f16 v3, v3, -0.5, v17
	v_sub_f16_e32 v16, v23, v39
	v_fma_f16 v57, v22, s6, v18
	v_fma_f16 v18, v16, s11, v3
	v_sub_f16_e32 v22, v37, v38
	v_sub_f16_e32 v23, v33, v34
	;; [unrolled: 1-line block ×3, first 2 shown]
	v_fma_f16 v3, v16, s5, v3
	v_add_f16_e32 v23, v23, v24
	v_fma_f16 v3, v22, s7, v3
	v_fma_f16 v61, v23, s6, v3
	v_add_f16_e32 v3, v33, v36
	v_fma_f16 v18, v22, s10, v18
	v_fma_f16 v3, v3, -0.5, v17
	v_fma_f16 v60, v23, s6, v18
	v_fma_f16 v17, v22, s5, v3
	v_sub_f16_e32 v18, v34, v33
	v_sub_f16_e32 v23, v35, v36
	v_fma_f16 v3, v22, s11, v3
	v_add_f16_e32 v18, v18, v23
	v_fma_f16 v3, v16, s7, v3
	v_fma_f16 v63, v18, s6, v3
	v_add_f16_e32 v3, v0, v40
	v_add_f16_e32 v3, v3, v43
	;; [unrolled: 1-line block ×5, first 2 shown]
	v_fma_f16 v17, v16, s10, v17
	v_fma_f16 v3, v3, -0.5, v0
	v_sub_f16_e32 v16, v42, v47
	v_fma_f16 v62, v18, s6, v17
	v_fma_f16 v17, v16, s11, v3
	v_sub_f16_e32 v18, v45, v46
	v_sub_f16_e32 v22, v40, v43
	;; [unrolled: 1-line block ×3, first 2 shown]
	v_fma_f16 v3, v16, s5, v3
	v_add_f16_e32 v22, v22, v23
	v_fma_f16 v3, v18, s7, v3
	v_fma_f16 v45, v22, s6, v3
	v_add_f16_e32 v3, v40, v41
	v_fma_f16 v17, v18, s10, v17
	v_fma_f16 v0, v3, -0.5, v0
	v_fma_f16 v42, v22, s6, v17
	v_fma_f16 v3, v18, s5, v0
	v_sub_f16_e32 v17, v43, v40
	v_sub_f16_e32 v22, v44, v41
	v_fma_f16 v0, v18, s11, v0
	v_add_f16_e32 v17, v17, v22
	v_fma_f16 v0, v16, s7, v0
	v_fma_f16 v44, v17, s6, v0
	v_add_f16_e32 v0, v1, v20
	v_fma_f16 v3, v16, s10, v3
	v_fma_f16 v36, v0, -0.5, v2
	v_sub_f16_e32 v38, v49, v51
	v_fma_f16 v43, v17, s6, v3
	v_fma_f16 v0, v38, s11, v36
	v_sub_f16_e32 v39, v25, v50
	v_sub_f16_e32 v3, v21, v1
	;; [unrolled: 1-line block ×3, first 2 shown]
	v_fma_f16 v0, v39, s10, v0
	v_add_f16_e32 v40, v3, v16
	v_fma_f16 v16, v40, s6, v0
	v_add_f16_e32 v0, v21, v19
	v_fma_f16 v37, v0, -0.5, v2
	v_fma_f16 v0, v39, s5, v37
	v_sub_f16_e32 v3, v1, v21
	v_sub_f16_e32 v17, v20, v19
	v_fma_f16 v28, v29, s10, v28
	v_fma_f16 v0, v38, s10, v0
	v_add_f16_e32 v41, v3, v17
	v_fma_f16 v55, v30, s6, v28
	v_fma_f16 v17, v41, s6, v0
	s_waitcnt lgkmcnt(0)
	s_barrier
	ds_read_u16 v23, v9
	ds_read_u16 v35, v5 offset:150
	ds_read_u16 v22, v5 offset:300
	;; [unrolled: 1-line block ×15, first 2 shown]
	s_waitcnt lgkmcnt(0)
	s_barrier
	ds_write_b16 v48, v54
	ds_write_b16 v48, v55 offset:10
	ds_write_b16 v48, v57 offset:20
	ds_write_b16 v48, v58 offset:30
	ds_write_b16 v48, v56 offset:40
	ds_write_b16 v52, v59
	ds_write_b16 v52, v60 offset:10
	ds_write_b16 v52, v62 offset:20
	ds_write_b16 v52, v63 offset:30
	ds_write_b16 v52, v61 offset:40
	;; [unrolled: 5-line block ×3, first 2 shown]
	s_and_saveexec_b64 s[2:3], vcc
	s_cbranch_execz .LBB0_24
; %bb.23:
	v_add_f16_e32 v2, v2, v21
	v_add_f16_e32 v1, v2, v1
	;; [unrolled: 1-line block ×3, first 2 shown]
	v_mul_lo_u16_sdwa v20, v10, s4 dst_sel:DWORD dst_unused:UNUSED_PAD src0_sel:BYTE_0 src1_sel:DWORD
	v_mul_f16_e32 v42, 0x3b9c, v38
	v_mul_f16_e32 v43, 0x38b4, v39
	;; [unrolled: 1-line block ×3, first 2 shown]
	v_lshrrev_b16_e32 v20, 10, v20
	v_mul_f16_e32 v38, 0x38b4, v38
	v_add_f16_e32 v1, v1, v19
	v_add_f16_e32 v2, v36, v42
	v_sub_f16_e32 v19, v37, v39
	v_mad_u32_u24 v20, v20, 50, 0
	v_mul_f16_e32 v40, 0x34f2, v40
	v_mul_f16_e32 v41, 0x34f2, v41
	v_add_f16_e32 v2, v43, v2
	v_add_f16_e32 v19, v38, v19
	v_add3_u32 v20, v20, v32, v12
	v_add_f16_e32 v2, v40, v2
	v_add_f16_e32 v19, v41, v19
	ds_write_b16 v20, v1
	ds_write_b16 v20, v16 offset:10
	ds_write_b16 v20, v17 offset:20
	;; [unrolled: 1-line block ×4, first 2 shown]
.LBB0_24:
	s_or_b64 exec, exec, s[2:3]
	v_mov_b32_e32 v36, 41
	v_mul_lo_u16_sdwa v36, v4, v36 dst_sel:DWORD dst_unused:UNUSED_PAD src0_sel:BYTE_0 src1_sel:DWORD
	v_lshrrev_b16_e32 v57, 10, v36
	v_mul_lo_u16_e32 v36, 25, v57
	v_sub_u16_e32 v60, v4, v36
	v_mov_b32_e32 v36, 15
	v_mul_u32_u24_sdwa v36, v60, v36 dst_sel:DWORD dst_unused:UNUSED_PAD src0_sel:BYTE_0 src1_sel:DWORD
	v_lshlrev_b32_e32 v50, 2, v36
	s_waitcnt lgkmcnt(0)
	s_barrier
	ds_read_u16 v20, v9
	ds_read_u16 v1, v5 offset:150
	ds_read_u16 v2, v5 offset:300
	;; [unrolled: 1-line block ×15, first 2 shown]
	global_load_dwordx4 v[36:39], v50, s[8:9] offset:80
	s_movk_i32 s2, 0x39a8
	s_mov_b32 s3, 0xb9a8
	s_mov_b32 s10, 0xbb64
	;; [unrolled: 1-line block ×3, first 2 shown]
	s_movk_i32 s7, 0x361f
	s_movk_i32 s11, 0x3b64
	s_waitcnt vmcnt(0) lgkmcnt(14)
	v_mul_f16_sdwa v51, v1, v36 dst_sel:DWORD dst_unused:UNUSED_PAD src0_sel:DWORD src1_sel:WORD_1
	v_fma_f16 v51, v35, v36, -v51
	v_mul_f16_sdwa v35, v35, v36 dst_sel:DWORD dst_unused:UNUSED_PAD src0_sel:DWORD src1_sel:WORD_1
	v_fma_f16 v35, v1, v36, v35
	s_waitcnt lgkmcnt(13)
	v_mul_f16_sdwa v1, v2, v37 dst_sel:DWORD dst_unused:UNUSED_PAD src0_sel:DWORD src1_sel:WORD_1
	v_fma_f16 v36, v22, v37, -v1
	v_mul_f16_sdwa v1, v22, v37 dst_sel:DWORD dst_unused:UNUSED_PAD src0_sel:DWORD src1_sel:WORD_1
	v_fma_f16 v37, v2, v37, v1
	s_waitcnt lgkmcnt(12)
	;; [unrolled: 5-line block ×3, first 2 shown]
	v_mul_f16_sdwa v1, v32, v39 dst_sel:DWORD dst_unused:UNUSED_PAD src0_sel:DWORD src1_sel:WORD_1
	v_fma_f16 v38, v0, v39, -v1
	v_mul_f16_sdwa v0, v0, v39 dst_sel:DWORD dst_unused:UNUSED_PAD src0_sel:DWORD src1_sel:WORD_1
	v_fma_f16 v22, v32, v39, v0
	global_load_dwordx4 v[0:3], v50, s[8:9] offset:96
	s_waitcnt vmcnt(0) lgkmcnt(10)
	v_mul_f16_sdwa v32, v40, v0 dst_sel:DWORD dst_unused:UNUSED_PAD src0_sel:DWORD src1_sel:WORD_1
	v_fma_f16 v39, v34, v0, -v32
	v_mul_f16_sdwa v32, v34, v0 dst_sel:DWORD dst_unused:UNUSED_PAD src0_sel:DWORD src1_sel:WORD_1
	v_fma_f16 v40, v40, v0, v32
	s_waitcnt lgkmcnt(9)
	v_mul_f16_sdwa v0, v41, v1 dst_sel:DWORD dst_unused:UNUSED_PAD src0_sel:DWORD src1_sel:WORD_1
	v_fma_f16 v53, v33, v1, -v0
	v_mul_f16_sdwa v0, v33, v1 dst_sel:DWORD dst_unused:UNUSED_PAD src0_sel:DWORD src1_sel:WORD_1
	v_fma_f16 v41, v41, v1, v0
	s_waitcnt lgkmcnt(8)
	v_mul_f16_sdwa v0, v42, v2 dst_sel:DWORD dst_unused:UNUSED_PAD src0_sel:DWORD src1_sel:WORD_1
	v_fma_f16 v54, v31, v2, -v0
	v_mul_f16_sdwa v0, v31, v2 dst_sel:DWORD dst_unused:UNUSED_PAD src0_sel:DWORD src1_sel:WORD_1
	global_load_dwordx4 v[31:34], v50, s[8:9] offset:112
	v_fma_f16 v42, v42, v2, v0
	s_waitcnt lgkmcnt(7)
	v_mul_f16_sdwa v0, v21, v3 dst_sel:DWORD dst_unused:UNUSED_PAD src0_sel:DWORD src1_sel:WORD_1
	v_fma_f16 v55, v18, v3, -v0
	s_waitcnt vmcnt(0) lgkmcnt(6)
	v_mul_f16_sdwa v0, v43, v31 dst_sel:DWORD dst_unused:UNUSED_PAD src0_sel:DWORD src1_sel:WORD_1
	v_fma_f16 v56, v30, v31, -v0
	v_mul_f16_sdwa v0, v30, v31 dst_sel:DWORD dst_unused:UNUSED_PAD src0_sel:DWORD src1_sel:WORD_1
	v_fma_f16 v30, v43, v31, v0
	s_waitcnt lgkmcnt(5)
	v_mul_f16_sdwa v0, v44, v32 dst_sel:DWORD dst_unused:UNUSED_PAD src0_sel:DWORD src1_sel:WORD_1
	v_fma_f16 v31, v29, v32, -v0
	v_mul_f16_sdwa v0, v29, v32 dst_sel:DWORD dst_unused:UNUSED_PAD src0_sel:DWORD src1_sel:WORD_1
	v_fma_f16 v29, v44, v32, v0
	s_waitcnt lgkmcnt(4)
	;; [unrolled: 5-line block ×3, first 2 shown]
	v_mul_f16_sdwa v0, v46, v34 dst_sel:DWORD dst_unused:UNUSED_PAD src0_sel:DWORD src1_sel:WORD_1
	v_fma_f16 v33, v27, v34, -v0
	v_mul_f16_sdwa v0, v27, v34 dst_sel:DWORD dst_unused:UNUSED_PAD src0_sel:DWORD src1_sel:WORD_1
	v_fma_f16 v27, v46, v34, v0
	global_load_dwordx3 v[0:2], v50, s[8:9] offset:128
	v_sub_f16_e32 v31, v36, v31
	v_sub_f16_e32 v30, v35, v30
	;; [unrolled: 1-line block ×4, first 2 shown]
	v_fma_f16 v35, v35, 2.0, -v30
	v_fma_f16 v37, v37, 2.0, -v29
	v_sub_f16_e32 v28, v19, v28
	v_fma_f16 v19, v19, 2.0, -v28
	s_waitcnt vmcnt(0) lgkmcnt(0)
	s_barrier
	v_mul_f16_sdwa v34, v47, v0 dst_sel:DWORD dst_unused:UNUSED_PAD src0_sel:DWORD src1_sel:WORD_1
	v_fma_f16 v34, v26, v0, -v34
	v_mul_f16_sdwa v26, v26, v0 dst_sel:DWORD dst_unused:UNUSED_PAD src0_sel:DWORD src1_sel:WORD_1
	v_fma_f16 v26, v47, v0, v26
	v_mul_f16_sdwa v0, v48, v1 dst_sel:DWORD dst_unused:UNUSED_PAD src0_sel:DWORD src1_sel:WORD_1
	v_fma_f16 v43, v25, v1, -v0
	v_mul_f16_sdwa v0, v25, v1 dst_sel:DWORD dst_unused:UNUSED_PAD src0_sel:DWORD src1_sel:WORD_1
	v_fma_f16 v25, v48, v1, v0
	;; [unrolled: 4-line block ×3, first 2 shown]
	v_sub_f16_e32 v26, v40, v26
	v_sub_f16_e32 v44, v54, v44
	;; [unrolled: 1-line block ×5, first 2 shown]
	v_fma_f16 v33, v36, 2.0, -v31
	v_sub_f16_e32 v36, v53, v43
	v_sub_f16_e32 v25, v41, v25
	;; [unrolled: 1-line block ×4, first 2 shown]
	v_fma_f16 v46, v40, 2.0, -v26
	v_fma_f16 v47, v52, 2.0, -v32
	v_sub_f16_e32 v2, v42, v2
	v_fma_f16 v48, v54, 2.0, -v44
	v_fma_f16 v23, v23, 2.0, -v24
	;; [unrolled: 1-line block ×8, first 2 shown]
	v_sub_f16_e32 v50, v24, v1
	v_sub_f16_e32 v25, v31, v25
	;; [unrolled: 1-line block ×7, first 2 shown]
	v_fma_f16 v24, v24, 2.0, -v50
	v_sub_f16_e32 v38, v33, v38
	v_sub_f16_e32 v40, v37, v41
	v_add_f16_e32 v36, v29, v36
	v_fma_f16 v31, v31, 2.0, -v25
	v_sub_f16_e32 v53, v45, v39
	v_fma_f16 v39, v35, 2.0, -v54
	v_add_f16_e32 v34, v30, v34
	v_fma_f16 v35, v43, 2.0, -v26
	v_fma_f16 v41, v47, 2.0, -v55
	v_add_f16_e32 v47, v28, v44
	v_fma_f16 v32, v32, 2.0, -v2
	v_fma_f16 v23, v23, 2.0, -v27
	;; [unrolled: 1-line block ×6, first 2 shown]
	v_sub_f16_e32 v56, v19, v42
	v_fma_f16 v28, v28, 2.0, -v47
	v_mul_f16_e32 v44, 0x39a8, v31
	v_fma_f16 v31, v31, s3, v24
	v_mul_f16_e32 v48, 0x39a8, v25
	v_fma_f16 v25, v25, s2, v50
	v_fma_f16 v42, v32, s3, v35
	v_fma_f16 v19, v19, 2.0, -v56
	v_sub_f16_e32 v33, v23, v33
	v_mul_f16_e32 v46, 0x39a8, v29
	v_fma_f16 v29, v29, s3, v31
	v_fma_f16 v25, v36, s3, v25
	v_sub_f16_e32 v41, v45, v41
	v_fma_f16 v43, v28, s3, v30
	v_fma_f16 v42, v28, s3, v42
	v_sub_f16_e32 v28, v53, v56
	v_fma_f16 v23, v23, 2.0, -v33
	v_fma_f16 v24, v24, 2.0, -v29
	v_sub_f16_e32 v31, v27, v40
	v_mul_f16_e32 v49, 0x39a8, v36
	v_fma_f16 v36, v50, 2.0, -v25
	v_sub_f16_e32 v50, v39, v19
	v_fma_f16 v19, v45, 2.0, -v41
	v_fma_f16 v43, v32, s2, v43
	v_fma_f16 v51, v35, 2.0, -v42
	v_fma_f16 v32, v53, 2.0, -v28
	v_fma_f16 v45, v2, s2, v26
	v_fma_f16 v53, v47, s2, v34
	v_fma_f16 v27, v27, 2.0, -v31
	v_fma_f16 v52, v30, 2.0, -v43
	v_add_f16_e32 v30, v54, v55
	v_fma_f16 v45, v47, s3, v45
	v_fma_f16 v47, v2, s2, v53
	v_sub_f16_e32 v2, v23, v19
	v_fma_f16 v19, v51, s10, v24
	v_fma_f16 v35, v54, 2.0, -v30
	v_fma_f16 v53, v26, 2.0, -v45
	v_fma_f16 v26, v52, s6, v19
	v_fma_f16 v19, v32, s3, v27
	v_fma_f16 v54, v34, 2.0, -v47
	v_mul_f16_e32 v55, 0x39a8, v32
	v_fma_f16 v32, v35, s3, v19
	v_fma_f16 v19, v53, s6, v36
	;; [unrolled: 1-line block ×6, first 2 shown]
	v_mul_f16_e32 v58, 0x39a8, v28
	v_fma_f16 v28, v30, s3, v19
	s_movk_i32 s2, 0x320
	v_mul_f16_e32 v59, 0x39a8, v30
	v_fma_f16 v30, v31, 2.0, -v28
	v_fma_f16 v19, v45, s11, v25
	v_mad_u32_u24 v31, v57, s2, 0
	v_mov_b32_e32 v57, 1
	v_mul_f16_e32 v56, 0x39a8, v35
	v_fma_f16 v35, v36, 2.0, -v34
	v_sub_f16_e32 v36, v33, v50
	v_fma_f16 v19, v47, s6, v19
	v_lshlrev_b32_sdwa v57, v57, v60 dst_sel:DWORD dst_unused:UNUSED_PAD src0_sel:DWORD src1_sel:BYTE_0
	v_fma_f16 v23, v23, 2.0, -v2
	v_fma_f16 v24, v24, 2.0, -v26
	;; [unrolled: 1-line block ×6, first 2 shown]
	v_add3_u32 v57, v31, v57, v12
	ds_write_b16 v57, v23
	ds_write_b16 v57, v24 offset:50
	ds_write_b16 v57, v27 offset:100
	;; [unrolled: 1-line block ×15, first 2 shown]
	s_waitcnt lgkmcnt(0)
	s_barrier
	ds_read_u16 v2, v9
	ds_read_u16 v24, v5 offset:800
	ds_read_u16 v23, v5 offset:1600
	;; [unrolled: 1-line block ×14, first 2 shown]
	v_cmp_gt_u32_e64 s[2:3], 25, v4
	s_and_saveexec_b64 s[4:5], s[2:3]
	s_cbranch_execz .LBB0_26
; %bb.25:
	ds_read_u16 v19, v5 offset:750
	ds_read_u16 v14, v5 offset:1550
	;; [unrolled: 1-line block ×3, first 2 shown]
.LBB0_26:
	s_or_b64 exec, exec, s[4:5]
	v_mul_f16_sdwa v12, v18, v3 dst_sel:DWORD dst_unused:UNUSED_PAD src0_sel:DWORD src1_sel:WORD_1
	v_fma_f16 v3, v21, v3, v12
	v_sub_f16_e32 v3, v20, v3
	v_fma_f16 v12, v20, 2.0, -v3
	v_fma_f16 v1, v22, 2.0, -v1
	v_sub_f16_e32 v1, v12, v1
	v_add_f16_e32 v0, v3, v0
	v_fma_f16 v12, v12, 2.0, -v1
	v_fma_f16 v3, v3, 2.0, -v0
	;; [unrolled: 1-line block ×3, first 2 shown]
	v_sub_f16_e32 v18, v12, v18
	v_sub_f16_e32 v20, v3, v46
	v_fma_f16 v12, v12, 2.0, -v18
	v_add_f16_e32 v20, v44, v20
	v_fma_f16 v37, v39, 2.0, -v50
	v_fma_f16 v3, v3, 2.0, -v20
	v_add_f16_e32 v21, v1, v38
	v_add_f16_e32 v22, v0, v49
	v_sub_f16_e32 v37, v12, v37
	v_fma_f16 v1, v1, 2.0, -v21
	v_add_f16_e32 v22, v48, v22
	v_fma_f16 v38, v12, 2.0, -v37
	v_fma_f16 v12, v52, s10, v3
	v_fma_f16 v0, v0, 2.0, -v22
	v_fma_f16 v39, v51, s7, v12
	v_sub_f16_e32 v12, v1, v56
	v_add_f16_e32 v40, v55, v12
	v_fma_f16 v12, v54, s6, v0
	v_fma_f16 v44, v53, s11, v12
	;; [unrolled: 1-line block ×4, first 2 shown]
	v_add_f16_e32 v12, v21, v59
	v_add_f16_e32 v43, v58, v12
	v_fma_f16 v12, v47, s11, v22
	v_add_f16_e32 v41, v18, v41
	v_fma_f16 v12, v45, s7, v12
	v_fma_f16 v3, v3, 2.0, -v39
	v_fma_f16 v18, v18, 2.0, -v41
	;; [unrolled: 1-line block ×7, first 2 shown]
	s_waitcnt lgkmcnt(0)
	s_barrier
	ds_write_b16 v57, v38
	ds_write_b16 v57, v3 offset:50
	ds_write_b16 v57, v1 offset:100
	ds_write_b16 v57, v0 offset:150
	ds_write_b16 v57, v18 offset:200
	ds_write_b16 v57, v20 offset:250
	ds_write_b16 v57, v21 offset:300
	ds_write_b16 v57, v22 offset:350
	ds_write_b16 v57, v37 offset:400
	ds_write_b16 v57, v39 offset:450
	ds_write_b16 v57, v40 offset:500
	ds_write_b16 v57, v44 offset:550
	ds_write_b16 v57, v41 offset:600
	ds_write_b16 v57, v42 offset:650
	ds_write_b16 v57, v43 offset:700
	ds_write_b16 v57, v12 offset:750
	s_waitcnt lgkmcnt(0)
	s_barrier
	ds_read_u16 v22, v5 offset:950
	ds_read_u16 v40, v5 offset:1100
	ds_read_u16 v3, v9
	ds_read_u16 v20, v5 offset:150
	ds_read_u16 v38, v5 offset:300
	;; [unrolled: 1-line block ×12, first 2 shown]
	s_and_saveexec_b64 s[4:5], s[2:3]
	s_cbranch_execz .LBB0_28
; %bb.27:
	ds_read_u16 v12, v5 offset:750
	ds_read_u16 v16, v5 offset:1550
	;; [unrolled: 1-line block ×3, first 2 shown]
.LBB0_28:
	s_or_b64 exec, exec, s[4:5]
	s_and_saveexec_b64 s[4:5], s[0:1]
	s_cbranch_execz .LBB0_31
; %bb.29:
	v_add_u32_e32 v55, 0x12c, v4
	v_lshlrev_b32_e32 v0, 1, v55
	v_mov_b32_e32 v1, 0
	v_lshlrev_b64 v[47:48], 2, v[0:1]
	v_lshlrev_b32_e32 v0, 1, v10
	v_mov_b32_e32 v5, s9
	v_add_co_u32_e32 v47, vcc, s8, v47
	v_lshlrev_b64 v[49:50], 2, v[0:1]
	v_addc_co_u32_e32 v48, vcc, v5, v48, vcc
	v_add_co_u32_e32 v49, vcc, s8, v49
	global_load_dwordx2 v[47:48], v[47:48], off offset:1580
	v_addc_co_u32_e32 v50, vcc, v5, v50, vcc
	global_load_dwordx2 v[49:50], v[49:50], off offset:1580
	v_lshlrev_b32_e32 v0, 1, v11
	v_lshlrev_b64 v[51:52], 2, v[0:1]
	v_lshlrev_b32_e32 v0, 1, v13
	v_add_co_u32_e32 v51, vcc, s8, v51
	v_addc_co_u32_e32 v52, vcc, v5, v52, vcc
	global_load_dwordx2 v[51:52], v[51:52], off offset:1580
	v_lshlrev_b64 v[53:54], 2, v[0:1]
	v_mov_b32_e32 v9, v1
	v_add_co_u32_e32 v53, vcc, s8, v53
	v_addc_co_u32_e32 v54, vcc, v5, v54, vcc
	v_lshlrev_b64 v[8:9], 2, v[8:9]
	global_load_dwordx2 v[53:54], v[53:54], off offset:1580
	v_add_co_u32_e32 v8, vcc, s8, v8
	v_addc_co_u32_e32 v9, vcc, v5, v9, vcc
	global_load_dwordx2 v[8:9], v[8:9], off offset:1580
	s_movk_i32 s0, 0x3aee
	s_mov_b32 s1, 0xbaee
	v_add_co_u32_e32 v6, vcc, s12, v6
	s_mov_b32 s4, 0x51eb851f
	s_movk_i32 s5, 0x384
	s_waitcnt vmcnt(4) lgkmcnt(0)
	v_mul_f16_sdwa v0, v46, v47 dst_sel:DWORD dst_unused:UNUSED_PAD src0_sel:DWORD src1_sel:WORD_1
	v_mul_f16_sdwa v5, v45, v48 dst_sel:DWORD dst_unused:UNUSED_PAD src0_sel:DWORD src1_sel:WORD_1
	v_mul_f16_sdwa v13, v35, v47 dst_sel:DWORD dst_unused:UNUSED_PAD src0_sel:DWORD src1_sel:WORD_1
	v_mul_f16_sdwa v56, v36, v48 dst_sel:DWORD dst_unused:UNUSED_PAD src0_sel:DWORD src1_sel:WORD_1
	v_fma_f16 v0, v35, v47, -v0
	v_fma_f16 v5, v36, v48, -v5
	v_fma_f16 v13, v46, v47, v13
	v_fma_f16 v35, v45, v48, v56
	s_waitcnt vmcnt(3)
	v_mul_f16_sdwa v36, v43, v49 dst_sel:DWORD dst_unused:UNUSED_PAD src0_sel:DWORD src1_sel:WORD_1
	v_mul_f16_sdwa v46, v33, v49 dst_sel:DWORD dst_unused:UNUSED_PAD src0_sel:DWORD src1_sel:WORD_1
	;; [unrolled: 1-line block ×4, first 2 shown]
	v_sub_f16_e32 v48, v0, v5
	v_add_f16_e32 v56, v13, v35
	v_add_f16_e32 v57, v0, v5
	v_sub_f16_e32 v58, v13, v35
	v_add_f16_e32 v13, v42, v13
	v_add_f16_e32 v0, v32, v0
	v_fma_f16 v33, v33, v49, -v36
	v_fma_f16 v36, v43, v49, v46
	v_fma_f16 v43, v44, v50, v47
	v_fma_f16 v34, v34, v50, -v45
	v_add_f16_e32 v13, v13, v35
	v_add_f16_e32 v35, v0, v5
	;; [unrolled: 1-line block ×3, first 2 shown]
	v_sub_f16_e32 v0, v33, v34
	v_add_f16_e32 v47, v33, v34
	v_fma_f16 v5, v5, -0.5, v41
	s_waitcnt vmcnt(2)
	v_mul_f16_sdwa v46, v30, v51 dst_sel:DWORD dst_unused:UNUSED_PAD src0_sel:DWORD src1_sel:WORD_1
	v_sub_f16_e32 v49, v36, v43
	v_add_f16_e32 v36, v41, v36
	v_add_f16_e32 v33, v31, v33
	v_fma_f16 v31, v47, -0.5, v31
	v_fma_f16 v41, v0, s0, v5
	v_fma_f16 v47, v0, s1, v5
	v_mul_f16_sdwa v0, v29, v52 dst_sel:DWORD dst_unused:UNUSED_PAD src0_sel:DWORD src1_sel:WORD_1
	v_mul_f16_sdwa v44, v40, v51 dst_sel:DWORD dst_unused:UNUSED_PAD src0_sel:DWORD src1_sel:WORD_1
	;; [unrolled: 1-line block ×3, first 2 shown]
	v_fma_f16 v40, v40, v51, v46
	v_fma_f16 v0, v39, v52, v0
	v_fma_f16 v30, v30, v51, -v44
	v_fma_f16 v44, v29, v52, -v45
	v_add_f16_e32 v5, v40, v0
	v_add_f16_e32 v33, v33, v34
	v_sub_f16_e32 v34, v30, v44
	v_fma_f16 v5, v5, -0.5, v38
	v_fma_f16 v42, v56, -0.5, v42
	v_fma_f16 v29, v34, s0, v5
	v_fma_f16 v34, v34, s1, v5
	v_add_f16_e32 v5, v38, v40
	v_fma_f16 v45, v48, s0, v42
	v_fma_f16 v42, v48, s1, v42
	v_add_f16_e32 v39, v30, v44
	v_sub_f16_e32 v48, v40, v0
	v_add_f16_e32 v38, v5, v0
	v_add_f16_e32 v0, v28, v30
	v_fma_f16 v39, v39, -0.5, v28
	v_add_f16_e32 v28, v0, v44
	s_waitcnt vmcnt(1)
	v_mul_f16_sdwa v0, v22, v53 dst_sel:DWORD dst_unused:UNUSED_PAD src0_sel:DWORD src1_sel:WORD_1
	v_mul_f16_sdwa v5, v37, v54 dst_sel:DWORD dst_unused:UNUSED_PAD src0_sel:DWORD src1_sel:WORD_1
	v_fma_f16 v0, v27, v53, -v0
	v_fma_f16 v5, v26, v54, -v5
	v_sub_f16_e32 v30, v0, v5
	v_mul_f16_sdwa v27, v27, v53 dst_sel:DWORD dst_unused:UNUSED_PAD src0_sel:DWORD src1_sel:WORD_1
	v_mul_f16_sdwa v26, v26, v54 dst_sel:DWORD dst_unused:UNUSED_PAD src0_sel:DWORD src1_sel:WORD_1
	v_add_f16_e32 v40, v0, v5
	v_add_f16_e32 v0, v25, v0
	v_fma_f16 v22, v22, v53, v27
	v_fma_f16 v26, v37, v54, v26
	v_add_f16_e32 v0, v0, v5
	s_waitcnt vmcnt(0)
	v_mul_f16_sdwa v5, v18, v8 dst_sel:DWORD dst_unused:UNUSED_PAD src0_sel:DWORD src1_sel:WORD_1
	v_add_f16_e32 v27, v22, v26
	v_fma_f16 v5, v24, v8, -v5
	v_mul_f16_sdwa v24, v24, v8 dst_sel:DWORD dst_unused:UNUSED_PAD src0_sel:DWORD src1_sel:WORD_1
	v_fma_f16 v27, v27, -0.5, v20
	v_sub_f16_e32 v44, v22, v26
	v_add_f16_e32 v20, v20, v22
	v_mul_f16_sdwa v22, v21, v9 dst_sel:DWORD dst_unused:UNUSED_PAD src0_sel:DWORD src1_sel:WORD_1
	v_fma_f16 v8, v18, v8, v24
	v_mul_f16_sdwa v18, v23, v9 dst_sel:DWORD dst_unused:UNUSED_PAD src0_sel:DWORD src1_sel:WORD_1
	v_fma_f16 v22, v23, v9, -v22
	v_fma_f16 v9, v21, v9, v18
	v_add_f16_e32 v18, v8, v9
	v_add_f16_e32 v23, v5, v22
	v_fma_f16 v18, v18, -0.5, v3
	v_fma_f16 v23, v23, -0.5, v2
	v_add_f16_e32 v3, v3, v8
	v_add_f16_e32 v2, v2, v5
	v_fma_f16 v40, v40, -0.5, v25
	v_sub_f16_e32 v25, v5, v22
	v_sub_f16_e32 v24, v8, v9
	v_add_f16_e32 v8, v3, v9
	v_add_f16_e32 v9, v2, v22
	v_mov_b32_e32 v5, v1
	v_mov_b32_e32 v2, s13
	v_addc_co_u32_e32 v7, vcc, v2, v7, vcc
	v_lshlrev_b64 v[2:3], 2, v[4:5]
	v_add_f16_e32 v20, v20, v26
	v_add_co_u32_e32 v2, vcc, v6, v2
	v_fma_f16 v21, v25, s0, v18
	v_fma_f16 v26, v24, s1, v23
	;; [unrolled: 1-line block ×4, first 2 shown]
	v_addc_co_u32_e32 v3, vcc, v7, v3, vcc
	v_pack_b32_f16 v5, v9, v8
	global_store_dword v[2:3], v5, off
	v_pack_b32_f16 v5, v23, v18
	global_store_dword v[2:3], v5, off offset:1600
	v_pack_b32_f16 v5, v26, v21
	global_store_dword v[2:3], v5, off offset:3200
	v_mul_hi_u32 v5, v11, s4
	v_fma_f16 v37, v30, s0, v27
	v_fma_f16 v27, v30, s1, v27
	;; [unrolled: 1-line block ×3, first 2 shown]
	v_pack_b32_f16 v0, v0, v20
	v_add_f16_e32 v36, v36, v43
	v_fma_f16 v43, v49, s1, v31
	v_fma_f16 v31, v49, s0, v31
	;; [unrolled: 1-line block ×5, first 2 shown]
	global_store_dword v[2:3], v0, off offset:300
	v_pack_b32_f16 v0, v30, v27
	global_store_dword v[2:3], v0, off offset:1900
	v_pack_b32_f16 v0, v48, v37
	global_store_dword v[2:3], v0, off offset:3500
	v_lshrrev_b32_e32 v0, 7, v5
	v_mul_u32_u24_e32 v0, 0x320, v0
	v_lshlrev_b64 v[5:6], 2, v[0:1]
	v_mul_hi_u32 v7, v10, s4
	v_add_co_u32_e32 v5, vcc, v2, v5
	v_addc_co_u32_e32 v6, vcc, v3, v6, vcc
	v_pack_b32_f16 v0, v28, v38
	global_store_dword v[5:6], v0, off offset:600
	v_pack_b32_f16 v0, v39, v34
	global_store_dword v[5:6], v0, off offset:2200
	;; [unrolled: 2-line block ×3, first 2 shown]
	v_lshrrev_b32_e32 v0, 7, v7
	v_mul_u32_u24_e32 v0, 0x320, v0
	v_lshlrev_b64 v[5:6], 2, v[0:1]
	v_mul_hi_u32 v9, v55, s4
	v_add_co_u32_e32 v5, vcc, v2, v5
	v_addc_co_u32_e32 v6, vcc, v3, v6, vcc
	v_pack_b32_f16 v0, v33, v36
	v_add_co_u32_e32 v7, vcc, s5, v5
	global_store_dword v[5:6], v0, off offset:900
	v_pack_b32_f16 v0, v31, v47
	v_addc_co_u32_e32 v8, vcc, 0, v6, vcc
	global_store_dword v[5:6], v0, off offset:2500
	v_pack_b32_f16 v0, v43, v41
	global_store_dword v[7:8], v0, off offset:3200
	v_lshrrev_b32_e32 v0, 7, v9
	v_mul_u32_u24_e32 v0, 0x320, v0
	v_lshlrev_b64 v[5:6], 2, v[0:1]
	v_fma_f16 v32, v57, -0.5, v32
	v_add_co_u32_e32 v5, vcc, v2, v5
	v_fma_f16 v46, v58, s1, v32
	v_fma_f16 v32, v58, s0, v32
	v_addc_co_u32_e32 v6, vcc, v3, v6, vcc
	v_pack_b32_f16 v0, v35, v13
	v_add_co_u32_e32 v7, vcc, 0x4b0, v5
	global_store_dword v[5:6], v0, off offset:1200
	v_pack_b32_f16 v0, v32, v42
	v_addc_co_u32_e32 v8, vcc, 0, v6, vcc
	global_store_dword v[5:6], v0, off offset:2800
	v_pack_b32_f16 v0, v46, v45
	global_store_dword v[7:8], v0, off offset:3200
	s_and_b64 exec, exec, s[2:3]
	s_cbranch_execz .LBB0_31
; %bb.30:
	v_not_b32_e32 v0, 24
	v_mov_b32_e32 v5, 0x177
	v_cndmask_b32_e64 v0, v0, v5, s[2:3]
	v_add_lshl_u32 v0, v4, v0, 1
	v_lshlrev_b64 v[0:1], 2, v[0:1]
	v_mov_b32_e32 v4, s9
	v_add_co_u32_e32 v0, vcc, s8, v0
	v_addc_co_u32_e32 v1, vcc, v4, v1, vcc
	global_load_dwordx2 v[0:1], v[0:1], off offset:1580
	v_add_co_u32_e32 v4, vcc, 0x1000, v2
	v_addc_co_u32_e32 v5, vcc, 0, v3, vcc
	s_waitcnt vmcnt(0)
	v_mul_f16_sdwa v6, v16, v0 dst_sel:DWORD dst_unused:UNUSED_PAD src0_sel:DWORD src1_sel:WORD_1
	v_mul_f16_sdwa v7, v14, v0 dst_sel:DWORD dst_unused:UNUSED_PAD src0_sel:DWORD src1_sel:WORD_1
	;; [unrolled: 1-line block ×4, first 2 shown]
	v_fma_f16 v6, v14, v0, -v6
	v_fma_f16 v0, v16, v0, v7
	v_fma_f16 v7, v15, v1, -v8
	v_fma_f16 v1, v17, v1, v9
	v_add_f16_e32 v8, v19, v6
	v_add_f16_e32 v9, v6, v7
	v_sub_f16_e32 v10, v0, v1
	v_add_f16_e32 v11, v12, v0
	v_add_f16_e32 v0, v0, v1
	v_sub_f16_e32 v6, v6, v7
	v_add_f16_e32 v7, v8, v7
	v_fma_f16 v8, v9, -0.5, v19
	v_add_f16_e32 v1, v11, v1
	v_fma_f16 v0, v0, -0.5, v12
	v_fma_f16 v9, v10, s0, v8
	v_fma_f16 v8, v10, s1, v8
	;; [unrolled: 1-line block ×3, first 2 shown]
	v_pack_b32_f16 v1, v7, v1
	v_fma_f16 v0, v6, s0, v0
	global_store_dword v[2:3], v1, off offset:1500
	v_pack_b32_f16 v1, v9, v10
	v_pack_b32_f16 v0, v8, v0
	global_store_dword v[2:3], v1, off offset:3100
	global_store_dword v[4:5], v0, off offset:604
.LBB0_31:
	s_endpgm
	.section	.rodata,"a",@progbits
	.p2align	6, 0x0
	.amdhsa_kernel fft_rtc_fwd_len1200_factors_5_5_16_3_wgs_225_tpt_75_halfLds_half_ip_CI_unitstride_sbrr_dirReg
		.amdhsa_group_segment_fixed_size 0
		.amdhsa_private_segment_fixed_size 0
		.amdhsa_kernarg_size 88
		.amdhsa_user_sgpr_count 6
		.amdhsa_user_sgpr_private_segment_buffer 1
		.amdhsa_user_sgpr_dispatch_ptr 0
		.amdhsa_user_sgpr_queue_ptr 0
		.amdhsa_user_sgpr_kernarg_segment_ptr 1
		.amdhsa_user_sgpr_dispatch_id 0
		.amdhsa_user_sgpr_flat_scratch_init 0
		.amdhsa_user_sgpr_private_segment_size 0
		.amdhsa_uses_dynamic_stack 0
		.amdhsa_system_sgpr_private_segment_wavefront_offset 0
		.amdhsa_system_sgpr_workgroup_id_x 1
		.amdhsa_system_sgpr_workgroup_id_y 0
		.amdhsa_system_sgpr_workgroup_id_z 0
		.amdhsa_system_sgpr_workgroup_info 0
		.amdhsa_system_vgpr_workitem_id 0
		.amdhsa_next_free_vgpr 73
		.amdhsa_next_free_sgpr 22
		.amdhsa_reserve_vcc 1
		.amdhsa_reserve_flat_scratch 0
		.amdhsa_float_round_mode_32 0
		.amdhsa_float_round_mode_16_64 0
		.amdhsa_float_denorm_mode_32 3
		.amdhsa_float_denorm_mode_16_64 3
		.amdhsa_dx10_clamp 1
		.amdhsa_ieee_mode 1
		.amdhsa_fp16_overflow 0
		.amdhsa_exception_fp_ieee_invalid_op 0
		.amdhsa_exception_fp_denorm_src 0
		.amdhsa_exception_fp_ieee_div_zero 0
		.amdhsa_exception_fp_ieee_overflow 0
		.amdhsa_exception_fp_ieee_underflow 0
		.amdhsa_exception_fp_ieee_inexact 0
		.amdhsa_exception_int_div_zero 0
	.end_amdhsa_kernel
	.text
.Lfunc_end0:
	.size	fft_rtc_fwd_len1200_factors_5_5_16_3_wgs_225_tpt_75_halfLds_half_ip_CI_unitstride_sbrr_dirReg, .Lfunc_end0-fft_rtc_fwd_len1200_factors_5_5_16_3_wgs_225_tpt_75_halfLds_half_ip_CI_unitstride_sbrr_dirReg
                                        ; -- End function
	.section	.AMDGPU.csdata,"",@progbits
; Kernel info:
; codeLenInByte = 10376
; NumSgprs: 26
; NumVgprs: 73
; ScratchSize: 0
; MemoryBound: 0
; FloatMode: 240
; IeeeMode: 1
; LDSByteSize: 0 bytes/workgroup (compile time only)
; SGPRBlocks: 3
; VGPRBlocks: 18
; NumSGPRsForWavesPerEU: 26
; NumVGPRsForWavesPerEU: 73
; Occupancy: 3
; WaveLimiterHint : 1
; COMPUTE_PGM_RSRC2:SCRATCH_EN: 0
; COMPUTE_PGM_RSRC2:USER_SGPR: 6
; COMPUTE_PGM_RSRC2:TRAP_HANDLER: 0
; COMPUTE_PGM_RSRC2:TGID_X_EN: 1
; COMPUTE_PGM_RSRC2:TGID_Y_EN: 0
; COMPUTE_PGM_RSRC2:TGID_Z_EN: 0
; COMPUTE_PGM_RSRC2:TIDIG_COMP_CNT: 0
	.type	__hip_cuid_89c8dae9850e9c9e,@object ; @__hip_cuid_89c8dae9850e9c9e
	.section	.bss,"aw",@nobits
	.globl	__hip_cuid_89c8dae9850e9c9e
__hip_cuid_89c8dae9850e9c9e:
	.byte	0                               ; 0x0
	.size	__hip_cuid_89c8dae9850e9c9e, 1

	.ident	"AMD clang version 19.0.0git (https://github.com/RadeonOpenCompute/llvm-project roc-6.4.0 25133 c7fe45cf4b819c5991fe208aaa96edf142730f1d)"
	.section	".note.GNU-stack","",@progbits
	.addrsig
	.addrsig_sym __hip_cuid_89c8dae9850e9c9e
	.amdgpu_metadata
---
amdhsa.kernels:
  - .args:
      - .actual_access:  read_only
        .address_space:  global
        .offset:         0
        .size:           8
        .value_kind:     global_buffer
      - .offset:         8
        .size:           8
        .value_kind:     by_value
      - .actual_access:  read_only
        .address_space:  global
        .offset:         16
        .size:           8
        .value_kind:     global_buffer
      - .actual_access:  read_only
        .address_space:  global
        .offset:         24
        .size:           8
        .value_kind:     global_buffer
      - .offset:         32
        .size:           8
        .value_kind:     by_value
      - .actual_access:  read_only
        .address_space:  global
        .offset:         40
        .size:           8
        .value_kind:     global_buffer
      - .actual_access:  read_only
        .address_space:  global
        .offset:         48
        .size:           8
        .value_kind:     global_buffer
      - .offset:         56
        .size:           4
        .value_kind:     by_value
      - .actual_access:  read_only
        .address_space:  global
        .offset:         64
        .size:           8
        .value_kind:     global_buffer
      - .actual_access:  read_only
        .address_space:  global
        .offset:         72
        .size:           8
        .value_kind:     global_buffer
      - .address_space:  global
        .offset:         80
        .size:           8
        .value_kind:     global_buffer
    .group_segment_fixed_size: 0
    .kernarg_segment_align: 8
    .kernarg_segment_size: 88
    .language:       OpenCL C
    .language_version:
      - 2
      - 0
    .max_flat_workgroup_size: 225
    .name:           fft_rtc_fwd_len1200_factors_5_5_16_3_wgs_225_tpt_75_halfLds_half_ip_CI_unitstride_sbrr_dirReg
    .private_segment_fixed_size: 0
    .sgpr_count:     26
    .sgpr_spill_count: 0
    .symbol:         fft_rtc_fwd_len1200_factors_5_5_16_3_wgs_225_tpt_75_halfLds_half_ip_CI_unitstride_sbrr_dirReg.kd
    .uniform_work_group_size: 1
    .uses_dynamic_stack: false
    .vgpr_count:     73
    .vgpr_spill_count: 0
    .wavefront_size: 64
amdhsa.target:   amdgcn-amd-amdhsa--gfx906
amdhsa.version:
  - 1
  - 2
...

	.end_amdgpu_metadata
